;; amdgpu-corpus repo=ROCm/rocFFT kind=compiled arch=gfx1030 opt=O3
	.text
	.amdgcn_target "amdgcn-amd-amdhsa--gfx1030"
	.amdhsa_code_object_version 6
	.protected	fft_rtc_fwd_len630_factors_3_3_5_7_2_wgs_63_tpt_63_halfLds_dp_ip_CI_unitstride_sbrr_C2R_dirReg ; -- Begin function fft_rtc_fwd_len630_factors_3_3_5_7_2_wgs_63_tpt_63_halfLds_dp_ip_CI_unitstride_sbrr_C2R_dirReg
	.globl	fft_rtc_fwd_len630_factors_3_3_5_7_2_wgs_63_tpt_63_halfLds_dp_ip_CI_unitstride_sbrr_C2R_dirReg
	.p2align	8
	.type	fft_rtc_fwd_len630_factors_3_3_5_7_2_wgs_63_tpt_63_halfLds_dp_ip_CI_unitstride_sbrr_C2R_dirReg,@function
fft_rtc_fwd_len630_factors_3_3_5_7_2_wgs_63_tpt_63_halfLds_dp_ip_CI_unitstride_sbrr_C2R_dirReg: ; @fft_rtc_fwd_len630_factors_3_3_5_7_2_wgs_63_tpt_63_halfLds_dp_ip_CI_unitstride_sbrr_C2R_dirReg
; %bb.0:
	s_clause 0x2
	s_load_dwordx4 s[8:11], s[4:5], 0x0
	s_load_dwordx2 s[2:3], s[4:5], 0x50
	s_load_dwordx2 s[12:13], s[4:5], 0x18
	v_mul_u32_u24_e32 v1, 0x411, v0
	v_mov_b32_e32 v3, 0
	v_add_nc_u32_sdwa v5, s6, v1 dst_sel:DWORD dst_unused:UNUSED_PAD src0_sel:DWORD src1_sel:WORD_1
	v_mov_b32_e32 v1, 0
	v_mov_b32_e32 v6, v3
	v_mov_b32_e32 v2, 0
	s_waitcnt lgkmcnt(0)
	v_cmp_lt_u64_e64 s0, s[10:11], 2
	s_and_b32 vcc_lo, exec_lo, s0
	s_cbranch_vccnz .LBB0_8
; %bb.1:
	s_load_dwordx2 s[0:1], s[4:5], 0x10
	v_mov_b32_e32 v1, 0
	s_add_u32 s6, s12, 8
	v_mov_b32_e32 v2, 0
	s_addc_u32 s7, s13, 0
	s_mov_b64 s[16:17], 1
	s_waitcnt lgkmcnt(0)
	s_add_u32 s14, s0, 8
	s_addc_u32 s15, s1, 0
.LBB0_2:                                ; =>This Inner Loop Header: Depth=1
	s_load_dwordx2 s[18:19], s[14:15], 0x0
                                        ; implicit-def: $vgpr7_vgpr8
	s_mov_b32 s0, exec_lo
	s_waitcnt lgkmcnt(0)
	v_or_b32_e32 v4, s19, v6
	v_cmpx_ne_u64_e32 0, v[3:4]
	s_xor_b32 s1, exec_lo, s0
	s_cbranch_execz .LBB0_4
; %bb.3:                                ;   in Loop: Header=BB0_2 Depth=1
	v_cvt_f32_u32_e32 v4, s18
	v_cvt_f32_u32_e32 v7, s19
	s_sub_u32 s0, 0, s18
	s_subb_u32 s20, 0, s19
	v_fmac_f32_e32 v4, 0x4f800000, v7
	v_rcp_f32_e32 v4, v4
	v_mul_f32_e32 v4, 0x5f7ffffc, v4
	v_mul_f32_e32 v7, 0x2f800000, v4
	v_trunc_f32_e32 v7, v7
	v_fmac_f32_e32 v4, 0xcf800000, v7
	v_cvt_u32_f32_e32 v7, v7
	v_cvt_u32_f32_e32 v4, v4
	v_mul_lo_u32 v8, s0, v7
	v_mul_hi_u32 v9, s0, v4
	v_mul_lo_u32 v10, s20, v4
	v_add_nc_u32_e32 v8, v9, v8
	v_mul_lo_u32 v9, s0, v4
	v_add_nc_u32_e32 v8, v8, v10
	v_mul_hi_u32 v10, v4, v9
	v_mul_lo_u32 v11, v4, v8
	v_mul_hi_u32 v12, v4, v8
	v_mul_hi_u32 v13, v7, v9
	v_mul_lo_u32 v9, v7, v9
	v_mul_hi_u32 v14, v7, v8
	v_mul_lo_u32 v8, v7, v8
	v_add_co_u32 v10, vcc_lo, v10, v11
	v_add_co_ci_u32_e32 v11, vcc_lo, 0, v12, vcc_lo
	v_add_co_u32 v9, vcc_lo, v10, v9
	v_add_co_ci_u32_e32 v9, vcc_lo, v11, v13, vcc_lo
	v_add_co_ci_u32_e32 v10, vcc_lo, 0, v14, vcc_lo
	v_add_co_u32 v8, vcc_lo, v9, v8
	v_add_co_ci_u32_e32 v9, vcc_lo, 0, v10, vcc_lo
	v_add_co_u32 v4, vcc_lo, v4, v8
	v_add_co_ci_u32_e32 v7, vcc_lo, v7, v9, vcc_lo
	v_mul_hi_u32 v8, s0, v4
	v_mul_lo_u32 v10, s20, v4
	v_mul_lo_u32 v9, s0, v7
	v_add_nc_u32_e32 v8, v8, v9
	v_mul_lo_u32 v9, s0, v4
	v_add_nc_u32_e32 v8, v8, v10
	v_mul_hi_u32 v10, v4, v9
	v_mul_lo_u32 v11, v4, v8
	v_mul_hi_u32 v12, v4, v8
	v_mul_hi_u32 v13, v7, v9
	v_mul_lo_u32 v9, v7, v9
	v_mul_hi_u32 v14, v7, v8
	v_mul_lo_u32 v8, v7, v8
	v_add_co_u32 v10, vcc_lo, v10, v11
	v_add_co_ci_u32_e32 v11, vcc_lo, 0, v12, vcc_lo
	v_add_co_u32 v9, vcc_lo, v10, v9
	v_add_co_ci_u32_e32 v9, vcc_lo, v11, v13, vcc_lo
	v_add_co_ci_u32_e32 v10, vcc_lo, 0, v14, vcc_lo
	v_add_co_u32 v8, vcc_lo, v9, v8
	v_add_co_ci_u32_e32 v9, vcc_lo, 0, v10, vcc_lo
	v_add_co_u32 v4, vcc_lo, v4, v8
	v_add_co_ci_u32_e32 v11, vcc_lo, v7, v9, vcc_lo
	v_mul_hi_u32 v13, v5, v4
	v_mad_u64_u32 v[9:10], null, v6, v4, 0
	v_mad_u64_u32 v[7:8], null, v5, v11, 0
	;; [unrolled: 1-line block ×3, first 2 shown]
	v_add_co_u32 v4, vcc_lo, v13, v7
	v_add_co_ci_u32_e32 v7, vcc_lo, 0, v8, vcc_lo
	v_add_co_u32 v4, vcc_lo, v4, v9
	v_add_co_ci_u32_e32 v4, vcc_lo, v7, v10, vcc_lo
	v_add_co_ci_u32_e32 v7, vcc_lo, 0, v12, vcc_lo
	v_add_co_u32 v4, vcc_lo, v4, v11
	v_add_co_ci_u32_e32 v9, vcc_lo, 0, v7, vcc_lo
	v_mul_lo_u32 v10, s19, v4
	v_mad_u64_u32 v[7:8], null, s18, v4, 0
	v_mul_lo_u32 v11, s18, v9
	v_sub_co_u32 v7, vcc_lo, v5, v7
	v_add3_u32 v8, v8, v11, v10
	v_sub_nc_u32_e32 v10, v6, v8
	v_subrev_co_ci_u32_e64 v10, s0, s19, v10, vcc_lo
	v_add_co_u32 v11, s0, v4, 2
	v_add_co_ci_u32_e64 v12, s0, 0, v9, s0
	v_sub_co_u32 v13, s0, v7, s18
	v_sub_co_ci_u32_e32 v8, vcc_lo, v6, v8, vcc_lo
	v_subrev_co_ci_u32_e64 v10, s0, 0, v10, s0
	v_cmp_le_u32_e32 vcc_lo, s18, v13
	v_cmp_eq_u32_e64 s0, s19, v8
	v_cndmask_b32_e64 v13, 0, -1, vcc_lo
	v_cmp_le_u32_e32 vcc_lo, s19, v10
	v_cndmask_b32_e64 v14, 0, -1, vcc_lo
	v_cmp_le_u32_e32 vcc_lo, s18, v7
	;; [unrolled: 2-line block ×3, first 2 shown]
	v_cndmask_b32_e64 v15, 0, -1, vcc_lo
	v_cmp_eq_u32_e32 vcc_lo, s19, v10
	v_cndmask_b32_e64 v7, v15, v7, s0
	v_cndmask_b32_e32 v10, v14, v13, vcc_lo
	v_add_co_u32 v13, vcc_lo, v4, 1
	v_add_co_ci_u32_e32 v14, vcc_lo, 0, v9, vcc_lo
	v_cmp_ne_u32_e32 vcc_lo, 0, v10
	v_cndmask_b32_e32 v8, v14, v12, vcc_lo
	v_cndmask_b32_e32 v10, v13, v11, vcc_lo
	v_cmp_ne_u32_e32 vcc_lo, 0, v7
	v_cndmask_b32_e32 v8, v9, v8, vcc_lo
	v_cndmask_b32_e32 v7, v4, v10, vcc_lo
.LBB0_4:                                ;   in Loop: Header=BB0_2 Depth=1
	s_andn2_saveexec_b32 s0, s1
	s_cbranch_execz .LBB0_6
; %bb.5:                                ;   in Loop: Header=BB0_2 Depth=1
	v_cvt_f32_u32_e32 v4, s18
	s_sub_i32 s1, 0, s18
	v_rcp_iflag_f32_e32 v4, v4
	v_mul_f32_e32 v4, 0x4f7ffffe, v4
	v_cvt_u32_f32_e32 v4, v4
	v_mul_lo_u32 v7, s1, v4
	v_mul_hi_u32 v7, v4, v7
	v_add_nc_u32_e32 v4, v4, v7
	v_mul_hi_u32 v4, v5, v4
	v_mul_lo_u32 v7, v4, s18
	v_add_nc_u32_e32 v8, 1, v4
	v_sub_nc_u32_e32 v7, v5, v7
	v_subrev_nc_u32_e32 v9, s18, v7
	v_cmp_le_u32_e32 vcc_lo, s18, v7
	v_cndmask_b32_e32 v7, v7, v9, vcc_lo
	v_cndmask_b32_e32 v4, v4, v8, vcc_lo
	v_cmp_le_u32_e32 vcc_lo, s18, v7
	v_add_nc_u32_e32 v8, 1, v4
	v_cndmask_b32_e32 v7, v4, v8, vcc_lo
	v_mov_b32_e32 v8, v3
.LBB0_6:                                ;   in Loop: Header=BB0_2 Depth=1
	s_or_b32 exec_lo, exec_lo, s0
	s_load_dwordx2 s[0:1], s[6:7], 0x0
	v_mul_lo_u32 v4, v8, s18
	v_mul_lo_u32 v11, v7, s19
	v_mad_u64_u32 v[9:10], null, v7, s18, 0
	s_add_u32 s16, s16, 1
	s_addc_u32 s17, s17, 0
	s_add_u32 s6, s6, 8
	s_addc_u32 s7, s7, 0
	;; [unrolled: 2-line block ×3, first 2 shown]
	v_add3_u32 v4, v10, v11, v4
	v_sub_co_u32 v5, vcc_lo, v5, v9
	v_sub_co_ci_u32_e32 v4, vcc_lo, v6, v4, vcc_lo
	s_waitcnt lgkmcnt(0)
	v_mul_lo_u32 v6, s1, v5
	v_mul_lo_u32 v4, s0, v4
	v_mad_u64_u32 v[1:2], null, s0, v5, v[1:2]
	v_cmp_ge_u64_e64 s0, s[16:17], s[10:11]
	s_and_b32 vcc_lo, exec_lo, s0
	v_add3_u32 v2, v6, v2, v4
	s_cbranch_vccnz .LBB0_9
; %bb.7:                                ;   in Loop: Header=BB0_2 Depth=1
	v_mov_b32_e32 v5, v7
	v_mov_b32_e32 v6, v8
	s_branch .LBB0_2
.LBB0_8:
	v_mov_b32_e32 v8, v6
	v_mov_b32_e32 v7, v5
.LBB0_9:
	s_lshl_b64 s[0:1], s[10:11], 3
	v_mul_hi_u32 v3, 0x4104105, v0
	s_add_u32 s0, s12, s0
	s_addc_u32 s1, s13, s1
	s_load_dwordx2 s[0:1], s[0:1], 0x0
	s_load_dwordx2 s[4:5], s[4:5], 0x20
	v_mul_u32_u24_e32 v3, 63, v3
	s_waitcnt lgkmcnt(0)
	v_mul_lo_u32 v4, s0, v8
	v_mul_lo_u32 v5, s1, v7
	v_mad_u64_u32 v[1:2], null, s0, v7, v[1:2]
	v_cmp_gt_u64_e32 vcc_lo, s[4:5], v[7:8]
	v_add3_u32 v2, v5, v2, v4
	v_sub_nc_u32_e32 v4, v0, v3
	v_mov_b32_e32 v5, 0
	v_lshlrev_b64 v[58:59], 4, v[1:2]
	v_mov_b32_e32 v56, v4
	s_and_saveexec_b32 s1, vcc_lo
	s_cbranch_execz .LBB0_13
; %bb.10:
	v_lshlrev_b64 v[0:1], 4, v[4:5]
	v_add_co_u32 v2, s0, s2, v58
	v_add_co_ci_u32_e64 v3, s0, s3, v59, s0
	v_lshl_add_u32 v46, v4, 4, 0
	v_add_co_u32 v0, s0, v2, v0
	v_add_co_ci_u32_e64 v1, s0, v3, v1, s0
	s_mov_b32 s4, exec_lo
	v_add_co_u32 v22, s0, 0x800, v0
	v_add_co_ci_u32_e64 v23, s0, 0, v1, s0
	v_add_co_u32 v30, s0, 0x1000, v0
	v_add_co_ci_u32_e64 v31, s0, 0, v1, s0
	v_add_co_u32 v38, s0, 0x1800, v0
	v_add_co_ci_u32_e64 v39, s0, 0, v1, s0
	s_clause 0x3
	global_load_dwordx4 v[6:9], v[0:1], off
	global_load_dwordx4 v[10:13], v[0:1], off offset:1008
	global_load_dwordx4 v[14:17], v[0:1], off offset:2016
	;; [unrolled: 1-line block ×3, first 2 shown]
	v_add_co_u32 v0, s0, 0x2000, v0
	v_add_co_ci_u32_e64 v1, s0, 0, v1, s0
	s_clause 0x5
	global_load_dwordx4 v[22:25], v[22:23], off offset:1984
	global_load_dwordx4 v[26:29], v[30:31], off offset:944
	;; [unrolled: 1-line block ×6, first 2 shown]
	v_mov_b32_e32 v0, v4
	v_mov_b32_e32 v1, v5
	s_waitcnt vmcnt(9)
	ds_write_b128 v46, v[6:9]
	s_waitcnt vmcnt(8)
	ds_write_b128 v46, v[10:13] offset:1008
	s_waitcnt vmcnt(7)
	ds_write_b128 v46, v[14:17] offset:2016
	;; [unrolled: 2-line block ×9, first 2 shown]
	v_cmpx_eq_u32_e32 62, v4
	s_cbranch_execz .LBB0_12
; %bb.11:
	v_add_co_u32 v0, s0, 0x2000, v2
	v_add_co_ci_u32_e64 v1, s0, 0, v3, s0
	v_mov_b32_e32 v2, 0
	v_mov_b32_e32 v4, 62
	global_load_dwordx4 v[5:8], v[0:1], off offset:1888
	v_mov_b32_e32 v0, 62
	v_mov_b32_e32 v1, 0
	s_waitcnt vmcnt(0)
	ds_write_b128 v2, v[5:8] offset:10080
.LBB0_12:
	s_or_b32 exec_lo, exec_lo, s4
	v_mov_b32_e32 v56, v4
	v_mov_b32_e32 v5, v1
	;; [unrolled: 1-line block ×3, first 2 shown]
.LBB0_13:
	s_or_b32 exec_lo, exec_lo, s1
	v_lshlrev_b32_e32 v0, 4, v56
	s_waitcnt lgkmcnt(0)
	s_barrier
	buffer_gl0_inv
	v_lshlrev_b64 v[60:61], 4, v[4:5]
	v_add_nc_u32_e32 v64, 0, v0
	v_sub_nc_u32_e32 v10, 0, v0
	s_add_u32 s1, s8, 0x2730
	s_addc_u32 s4, s9, 0
	s_mov_b32 s5, exec_lo
	ds_read_b64 v[6:7], v64
	ds_read_b64 v[8:9], v10 offset:10080
	s_waitcnt lgkmcnt(0)
	v_add_f64 v[0:1], v[6:7], v[8:9]
	v_add_f64 v[2:3], v[6:7], -v[8:9]
	v_cmpx_ne_u32_e32 0, v56
	s_xor_b32 s5, exec_lo, s5
	s_cbranch_execz .LBB0_15
; %bb.14:
	v_add_co_u32 v0, s0, s1, v60
	v_add_co_ci_u32_e64 v1, s0, s4, v61, s0
	v_add_f64 v[13:14], v[6:7], v[8:9]
	v_add_f64 v[8:9], v[6:7], -v[8:9]
	global_load_dwordx4 v[2:5], v[0:1], off
	ds_read_b64 v[0:1], v10 offset:10088
	ds_read_b64 v[11:12], v64 offset:8
	s_waitcnt lgkmcnt(0)
	v_add_f64 v[6:7], v[0:1], v[11:12]
	v_add_f64 v[0:1], v[11:12], -v[0:1]
	s_waitcnt vmcnt(0)
	v_fma_f64 v[11:12], v[8:9], v[4:5], v[13:14]
	v_fma_f64 v[13:14], -v[8:9], v[4:5], v[13:14]
	v_fma_f64 v[15:16], v[6:7], v[4:5], -v[0:1]
	v_fma_f64 v[17:18], v[6:7], v[4:5], v[0:1]
	v_fma_f64 v[0:1], -v[6:7], v[2:3], v[11:12]
	v_fma_f64 v[4:5], v[6:7], v[2:3], v[13:14]
	v_fma_f64 v[6:7], v[8:9], v[2:3], v[15:16]
	;; [unrolled: 1-line block ×3, first 2 shown]
	ds_write_b128 v10, v[4:7] offset:10080
.LBB0_15:
	s_andn2_saveexec_b32 s0, s5
	s_cbranch_execz .LBB0_17
; %bb.16:
	v_mov_b32_e32 v8, 0
	ds_read_b128 v[4:7], v8 offset:5040
	s_waitcnt lgkmcnt(0)
	v_add_f64 v[4:5], v[4:5], v[4:5]
	v_mul_f64 v[6:7], v[6:7], -2.0
	ds_write_b128 v8, v[4:7] offset:5040
.LBB0_17:
	s_or_b32 exec_lo, exec_lo, s0
	v_mov_b32_e32 v57, 0
	s_mov_b32 s5, 0xbfebb67a
	v_lshlrev_b64 v[62:63], 4, v[56:57]
	v_add_co_u32 v8, s0, s1, v62
	v_add_co_ci_u32_e64 v9, s0, s4, v63, s0
	s_clause 0x1
	global_load_dwordx4 v[4:7], v[8:9], off offset:1008
	global_load_dwordx4 v[11:14], v[8:9], off offset:2016
	v_add_co_u32 v8, s0, 0x800, v8
	v_add_co_ci_u32_e64 v9, s0, 0, v9, s0
	ds_write_b128 v64, v[0:3]
	s_mov_b32 s0, 0xe8584caa
	s_mov_b32 s1, 0x3febb67a
	global_load_dwordx4 v[15:18], v[8:9], off offset:976
	ds_read_b128 v[0:3], v64 offset:1008
	ds_read_b128 v[19:22], v10 offset:9072
	global_load_dwordx4 v[23:26], v[8:9], off offset:1984
	s_mov_b32 s4, s0
	s_waitcnt lgkmcnt(0)
	v_add_f64 v[8:9], v[0:1], v[19:20]
	v_add_f64 v[27:28], v[21:22], v[2:3]
	v_add_f64 v[19:20], v[0:1], -v[19:20]
	v_add_f64 v[0:1], v[2:3], -v[21:22]
	s_waitcnt vmcnt(3)
	v_fma_f64 v[2:3], v[19:20], v[6:7], v[8:9]
	v_fma_f64 v[21:22], v[27:28], v[6:7], v[0:1]
	v_fma_f64 v[8:9], -v[19:20], v[6:7], v[8:9]
	v_fma_f64 v[29:30], v[27:28], v[6:7], -v[0:1]
	v_fma_f64 v[0:1], -v[27:28], v[4:5], v[2:3]
	v_fma_f64 v[2:3], v[19:20], v[4:5], v[21:22]
	v_fma_f64 v[6:7], v[27:28], v[4:5], v[8:9]
	v_fma_f64 v[8:9], v[19:20], v[4:5], v[29:30]
	ds_write_b128 v64, v[0:3] offset:1008
	ds_write_b128 v10, v[6:9] offset:9072
	ds_read_b128 v[0:3], v64 offset:2016
	ds_read_b128 v[4:7], v10 offset:8064
	s_waitcnt lgkmcnt(0)
	v_add_f64 v[8:9], v[0:1], v[4:5]
	v_add_f64 v[19:20], v[6:7], v[2:3]
	v_add_f64 v[21:22], v[0:1], -v[4:5]
	v_add_f64 v[0:1], v[2:3], -v[6:7]
	s_waitcnt vmcnt(2)
	v_fma_f64 v[2:3], v[21:22], v[13:14], v[8:9]
	v_fma_f64 v[4:5], v[19:20], v[13:14], v[0:1]
	v_fma_f64 v[6:7], -v[21:22], v[13:14], v[8:9]
	v_fma_f64 v[8:9], v[19:20], v[13:14], -v[0:1]
	v_fma_f64 v[0:1], -v[19:20], v[11:12], v[2:3]
	v_fma_f64 v[2:3], v[21:22], v[11:12], v[4:5]
	v_fma_f64 v[4:5], v[19:20], v[11:12], v[6:7]
	v_fma_f64 v[6:7], v[21:22], v[11:12], v[8:9]
	ds_write_b128 v64, v[0:3] offset:2016
	ds_write_b128 v10, v[4:7] offset:8064
	ds_read_b128 v[0:3], v64 offset:3024
	ds_read_b128 v[4:7], v10 offset:7056
	;; [unrolled: 18-line block ×3, first 2 shown]
	s_waitcnt lgkmcnt(0)
	v_add_f64 v[8:9], v[0:1], v[4:5]
	v_add_f64 v[11:12], v[6:7], v[2:3]
	v_add_f64 v[13:14], v[0:1], -v[4:5]
	v_add_f64 v[0:1], v[2:3], -v[6:7]
	s_waitcnt vmcnt(0)
	v_fma_f64 v[2:3], v[13:14], v[25:26], v[8:9]
	v_fma_f64 v[4:5], v[11:12], v[25:26], v[0:1]
	v_fma_f64 v[6:7], -v[13:14], v[25:26], v[8:9]
	v_fma_f64 v[8:9], v[11:12], v[25:26], -v[0:1]
	v_fma_f64 v[0:1], -v[11:12], v[23:24], v[2:3]
	v_fma_f64 v[2:3], v[13:14], v[23:24], v[4:5]
	v_fma_f64 v[4:5], v[11:12], v[23:24], v[6:7]
	;; [unrolled: 1-line block ×3, first 2 shown]
	ds_write_b128 v64, v[0:3] offset:4032
	ds_write_b128 v10, v[4:7] offset:6048
	s_waitcnt lgkmcnt(0)
	s_barrier
	buffer_gl0_inv
	s_barrier
	buffer_gl0_inv
	ds_read_b128 v[0:3], v64 offset:6720
	ds_read_b128 v[4:7], v64 offset:3360
	ds_read_b128 v[8:11], v64 offset:4368
	ds_read_b128 v[12:15], v64 offset:7728
	ds_read_b128 v[16:19], v64 offset:8736
	ds_read_b128 v[20:23], v64 offset:5376
	ds_read_b128 v[24:27], v64
	ds_read_b128 v[28:31], v64 offset:6384
	ds_read_b128 v[32:35], v64 offset:9744
	;; [unrolled: 1-line block ×5, first 2 shown]
	s_waitcnt lgkmcnt(0)
	s_barrier
	buffer_gl0_inv
	v_add_f64 v[48:49], v[4:5], v[0:1]
	v_add_f64 v[50:51], v[6:7], v[2:3]
	v_add_f64 v[52:53], v[8:9], v[12:13]
	v_add_f64 v[54:55], v[10:11], v[14:15]
	v_add_f64 v[65:66], v[20:21], v[16:17]
	v_add_f64 v[67:68], v[24:25], v[4:5]
	v_add_f64 v[69:70], v[22:23], v[18:19]
	v_add_f64 v[73:74], v[28:29], v[32:33]
	v_add_f64 v[77:78], v[30:31], v[34:35]
	v_add_f64 v[71:72], v[26:27], v[6:7]
	v_add_f64 v[81:82], v[6:7], -v[2:3]
	v_add_f64 v[83:84], v[4:5], -v[0:1]
	v_add_f64 v[85:86], v[40:41], v[20:21]
	v_add_f64 v[87:88], v[42:43], v[22:23]
	;; [unrolled: 1-line block ×4, first 2 shown]
	v_add_f64 v[22:23], v[22:23], -v[18:19]
	v_add_f64 v[20:21], v[20:21], -v[16:17]
	;; [unrolled: 1-line block ×4, first 2 shown]
	v_add_f64 v[75:76], v[36:37], v[8:9]
	v_add_f64 v[79:80], v[38:39], v[10:11]
	v_fma_f64 v[48:49], v[48:49], -0.5, v[24:25]
	v_fma_f64 v[50:51], v[50:51], -0.5, v[26:27]
	v_add_f64 v[93:94], v[10:11], -v[14:15]
	v_add_f64 v[95:96], v[8:9], -v[12:13]
	v_fma_f64 v[65:66], v[65:66], -0.5, v[40:41]
	v_add_f64 v[4:5], v[67:68], v[0:1]
	v_fma_f64 v[69:70], v[69:70], -0.5, v[42:43]
	v_fma_f64 v[73:74], v[73:74], -0.5, v[44:45]
	;; [unrolled: 1-line block ×5, first 2 shown]
	v_add_f64 v[6:7], v[71:72], v[2:3]
	v_add_f64 v[24:25], v[85:86], v[16:17]
	;; [unrolled: 1-line block ×7, first 2 shown]
	v_fma_f64 v[28:29], v[81:82], s[0:1], v[48:49]
	v_fma_f64 v[32:33], v[81:82], s[4:5], v[48:49]
	;; [unrolled: 1-line block ×16, first 2 shown]
	v_lshlrev_b32_e32 v0, 5, v56
	v_cmp_gt_u32_e64 s0, 21, v56
	v_add_nc_u32_e32 v0, v64, v0
	ds_write_b128 v0, v[4:7]
	ds_write_b128 v0, v[12:15] offset:3024
	ds_write_b128 v0, v[24:27] offset:6048
	;; [unrolled: 1-line block ×8, first 2 shown]
	s_and_saveexec_b32 s1, s0
	s_cbranch_execz .LBB0_19
; %bb.18:
	ds_write_b128 v0, v[8:11] offset:9072
	ds_write_b128 v0, v[16:19] offset:9088
	;; [unrolled: 1-line block ×3, first 2 shown]
.LBB0_19:
	s_or_b32 exec_lo, exec_lo, s1
	s_waitcnt lgkmcnt(0)
	s_barrier
	buffer_gl0_inv
	ds_read_b128 v[4:7], v64
	ds_read_b128 v[0:3], v64 offset:1008
	ds_read_b128 v[40:43], v64 offset:6720
	;; [unrolled: 1-line block ×8, first 2 shown]
	s_and_saveexec_b32 s1, s0
	s_cbranch_execz .LBB0_21
; %bb.20:
	ds_read_b128 v[8:11], v64 offset:3024
	ds_read_b128 v[16:19], v64 offset:6384
	;; [unrolled: 1-line block ×3, first 2 shown]
.LBB0_21:
	s_or_b32 exec_lo, exec_lo, s1
	v_add_nc_u16 v57, v56, 63
	v_and_b32_e32 v48, 0xff, v56
	v_add_nc_u16 v74, v56, 0x7e
	v_mov_b32_e32 v82, 5
	s_mov_b32 s4, 0xe8584caa
	v_and_b32_e32 v65, 0xff, v57
	v_mul_lo_u16 v49, 0xab, v48
	s_mov_b32 s5, 0x3febb67a
	s_mov_b32 s7, 0xbfebb67a
	;; [unrolled: 1-line block ×3, first 2 shown]
	v_mul_lo_u16 v50, 0xab, v65
	v_lshrrev_b16 v55, 9, v49
	v_lshrrev_b16 v103, 9, v50
	v_mul_lo_u16 v49, v55, 3
	v_add_nc_u16 v50, v56, 0xbd
	v_mul_lo_u16 v67, v103, 3
	v_sub_nc_u16 v102, v56, v49
	v_and_b32_e32 v49, 0xff, v74
	v_and_b32_e32 v68, 0xff, v50
	v_sub_nc_u16 v104, v57, v67
	v_lshlrev_b32_sdwa v66, v82, v102 dst_sel:DWORD dst_unused:UNUSED_PAD src0_sel:DWORD src1_sel:BYTE_0
	v_mul_lo_u16 v49, 0xab, v49
	v_mul_lo_u16 v70, 0xab, v68
	v_lshlrev_b32_sdwa v75, v82, v104 dst_sel:DWORD dst_unused:UNUSED_PAD src0_sel:DWORD src1_sel:BYTE_0
	global_load_dwordx4 v[51:54], v66, s[8:9]
	v_lshrrev_b16 v105, 9, v49
	v_lshrrev_b16 v49, 9, v70
	s_clause 0x1
	global_load_dwordx4 v[70:73], v75, s[8:9]
	global_load_dwordx4 v[66:69], v66, s[8:9] offset:16
	v_mul_lo_u16 v76, v105, 3
	v_mul_lo_u16 v77, v49, 3
	v_sub_nc_u16 v106, v74, v76
	v_sub_nc_u16 v50, v50, v77
	v_lshlrev_b32_sdwa v83, v82, v106 dst_sel:DWORD dst_unused:UNUSED_PAD src0_sel:DWORD src1_sel:BYTE_0
	v_lshlrev_b32_sdwa v90, v82, v50 dst_sel:DWORD dst_unused:UNUSED_PAD src0_sel:DWORD src1_sel:BYTE_0
	s_clause 0x4
	global_load_dwordx4 v[74:77], v75, s[8:9] offset:16
	global_load_dwordx4 v[78:81], v83, s[8:9]
	global_load_dwordx4 v[82:85], v83, s[8:9] offset:16
	global_load_dwordx4 v[86:89], v90, s[8:9]
	global_load_dwordx4 v[90:93], v90, s[8:9] offset:16
	s_waitcnt vmcnt(0) lgkmcnt(0)
	s_barrier
	buffer_gl0_inv
	v_mul_f64 v[94:95], v[46:47], v[53:54]
	v_mul_f64 v[53:54], v[44:45], v[53:54]
	;; [unrolled: 1-line block ×7, first 2 shown]
	v_fma_f64 v[44:45], v[44:45], v[51:52], -v[94:95]
	v_fma_f64 v[46:47], v[46:47], v[51:52], v[53:54]
	v_mul_f64 v[51:52], v[24:25], v[76:77]
	v_mul_f64 v[53:54], v[30:31], v[80:81]
	;; [unrolled: 1-line block ×4, first 2 shown]
	v_fma_f64 v[40:41], v[40:41], v[66:67], -v[96:97]
	v_fma_f64 v[42:43], v[42:43], v[66:67], v[68:69]
	v_mul_f64 v[66:67], v[32:33], v[84:85]
	v_mul_f64 v[68:69], v[18:19], v[88:89]
	;; [unrolled: 1-line block ×4, first 2 shown]
	v_fma_f64 v[36:37], v[36:37], v[70:71], -v[98:99]
	v_fma_f64 v[38:39], v[38:39], v[70:71], v[72:73]
	v_mul_f64 v[70:71], v[20:21], v[92:93]
	v_fma_f64 v[72:73], v[24:25], v[74:75], -v[100:101]
	v_fma_f64 v[26:27], v[26:27], v[74:75], v[51:52]
	v_fma_f64 v[28:29], v[28:29], v[78:79], -v[53:54]
	v_fma_f64 v[30:31], v[30:31], v[78:79], v[76:77]
	v_fma_f64 v[32:33], v[32:33], v[82:83], -v[80:81]
	v_add_f64 v[51:52], v[44:45], v[40:41]
	v_add_f64 v[53:54], v[46:47], v[42:43]
	v_fma_f64 v[34:35], v[34:35], v[82:83], v[66:67]
	v_fma_f64 v[16:17], v[16:17], v[86:87], -v[68:69]
	v_fma_f64 v[24:25], v[18:19], v[86:87], v[84:85]
	v_fma_f64 v[20:21], v[20:21], v[90:91], -v[88:89]
	v_add_f64 v[80:81], v[6:7], v[46:47]
	v_add_f64 v[82:83], v[4:5], v[44:45]
	v_fma_f64 v[18:19], v[22:23], v[90:91], v[70:71]
	v_add_f64 v[46:47], v[46:47], -v[42:43]
	v_add_f64 v[84:85], v[2:3], v[38:39]
	v_add_f64 v[86:87], v[0:1], v[36:37]
	v_add_f64 v[44:45], v[44:45], -v[40:41]
	v_add_f64 v[66:67], v[36:37], v[72:73]
	v_mov_b32_e32 v23, 0x90
	v_mov_b32_e32 v22, 4
	v_add_f64 v[68:69], v[38:39], v[26:27]
	v_add_f64 v[88:89], v[12:13], v[28:29]
	;; [unrolled: 1-line block ×4, first 2 shown]
	v_fma_f64 v[4:5], v[51:52], -0.5, v[4:5]
	v_fma_f64 v[6:7], v[53:54], -0.5, v[6:7]
	v_add_f64 v[74:75], v[30:31], v[34:35]
	v_add_f64 v[51:52], v[38:39], -v[26:27]
	v_add_f64 v[53:54], v[36:37], -v[72:73]
	v_add_f64 v[76:77], v[16:17], v[20:21]
	v_add_f64 v[96:97], v[16:17], -v[20:21]
	v_add_f64 v[92:93], v[28:29], -v[32:33]
	v_add_f64 v[78:79], v[24:25], v[18:19]
	v_add_f64 v[94:95], v[24:25], -v[18:19]
	v_add_f64 v[28:29], v[84:85], v[26:27]
	v_add_f64 v[26:27], v[86:87], v[72:73]
	v_mul_u32_u24_sdwa v55, v55, v23 dst_sel:DWORD dst_unused:UNUSED_PAD src0_sel:WORD_0 src1_sel:DWORD
	v_fma_f64 v[0:1], v[66:67], -0.5, v[0:1]
	v_fma_f64 v[2:3], v[68:69], -0.5, v[2:3]
	v_add_f64 v[68:69], v[30:31], -v[34:35]
	v_add_f64 v[30:31], v[88:89], v[32:33]
	v_fma_f64 v[70:71], v[70:71], -0.5, v[12:13]
	v_add_f64 v[12:13], v[82:83], v[40:41]
	v_add_f64 v[32:33], v[90:91], v[34:35]
	v_fma_f64 v[74:75], v[74:75], -0.5, v[14:15]
	v_add_f64 v[14:15], v[80:81], v[42:43]
	v_fma_f64 v[34:35], v[46:47], s[4:5], v[4:5]
	v_fma_f64 v[76:77], v[76:77], -0.5, v[8:9]
	v_fma_f64 v[38:39], v[46:47], s[6:7], v[4:5]
	v_fma_f64 v[36:37], v[44:45], s[6:7], v[6:7]
	v_fma_f64 v[78:79], v[78:79], -0.5, v[10:11]
	v_fma_f64 v[40:41], v[44:45], s[4:5], v[6:7]
	v_lshlrev_b32_sdwa v46, v22, v102 dst_sel:DWORD dst_unused:UNUSED_PAD src0_sel:DWORD src1_sel:BYTE_0
	v_mul_u32_u24_sdwa v47, v103, v23 dst_sel:DWORD dst_unused:UNUSED_PAD src0_sel:WORD_0 src1_sel:DWORD
	v_fma_f64 v[42:43], v[51:52], s[4:5], v[0:1]
	v_fma_f64 v[51:52], v[51:52], s[6:7], v[0:1]
	v_add3_u32 v46, 0, v55, v46
	v_lshlrev_b32_sdwa v55, v22, v104 dst_sel:DWORD dst_unused:UNUSED_PAD src0_sel:DWORD src1_sel:BYTE_0
	v_fma_f64 v[44:45], v[53:54], s[6:7], v[2:3]
	v_fma_f64 v[53:54], v[53:54], s[4:5], v[2:3]
	;; [unrolled: 1-line block ×4, first 2 shown]
	v_add3_u32 v47, 0, v47, v55
	v_fma_f64 v[68:69], v[92:93], s[6:7], v[74:75]
	v_fma_f64 v[72:73], v[92:93], s[4:5], v[74:75]
	v_mul_u32_u24_sdwa v74, v105, v23 dst_sel:DWORD dst_unused:UNUSED_PAD src0_sel:WORD_0 src1_sel:DWORD
	v_fma_f64 v[0:1], v[94:95], s[4:5], v[76:77]
	v_fma_f64 v[4:5], v[94:95], s[6:7], v[76:77]
	v_lshlrev_b32_sdwa v75, v22, v106 dst_sel:DWORD dst_unused:UNUSED_PAD src0_sel:DWORD src1_sel:BYTE_0
	v_fma_f64 v[2:3], v[96:97], s[6:7], v[78:79]
	v_fma_f64 v[6:7], v[96:97], s[4:5], v[78:79]
	v_add3_u32 v55, 0, v74, v75
	ds_write_b128 v46, v[12:15]
	ds_write_b128 v46, v[34:37] offset:48
	ds_write_b128 v46, v[38:41] offset:96
	ds_write_b128 v47, v[26:29]
	ds_write_b128 v47, v[42:45] offset:48
	ds_write_b128 v47, v[51:54] offset:96
	;; [unrolled: 3-line block ×3, first 2 shown]
	s_and_saveexec_b32 s1, s0
	s_cbranch_execz .LBB0_23
; %bb.22:
	v_add_f64 v[10:11], v[10:11], v[24:25]
	v_add_f64 v[8:9], v[8:9], v[16:17]
	v_mul_u32_u24_sdwa v12, v49, v23 dst_sel:DWORD dst_unused:UNUSED_PAD src0_sel:WORD_0 src1_sel:DWORD
	v_lshlrev_b32_sdwa v13, v22, v50 dst_sel:DWORD dst_unused:UNUSED_PAD src0_sel:DWORD src1_sel:BYTE_0
	v_add3_u32 v12, 0, v12, v13
	v_add_f64 v[10:11], v[10:11], v[18:19]
	v_add_f64 v[8:9], v[8:9], v[20:21]
	ds_write_b128 v12, v[0:3] offset:48
	ds_write_b128 v12, v[8:11]
	ds_write_b128 v12, v[4:7] offset:96
.LBB0_23:
	s_or_b32 exec_lo, exec_lo, s1
	v_mul_lo_u16 v8, v48, 57
	v_mov_b32_e32 v16, 6
	s_waitcnt lgkmcnt(0)
	s_barrier
	buffer_gl0_inv
	v_lshrrev_b16 v20, 9, v8
	v_mul_lo_u16 v8, v65, 57
	s_mov_b32 s0, 0x134454ff
	s_mov_b32 s1, 0x3fee6f0e
	;; [unrolled: 1-line block ×3, first 2 shown]
	v_mul_lo_u16 v9, v20, 9
	v_lshrrev_b16 v21, 9, v8
	s_mov_b32 s4, s0
	s_mov_b32 s6, 0x4755a5e
	;; [unrolled: 1-line block ×3, first 2 shown]
	v_sub_nc_u16 v24, v56, v9
	v_mul_lo_u16 v8, v21, 9
	s_mov_b32 s11, 0xbfe2cf23
	s_mov_b32 s10, s6
	v_mov_b32_e32 v55, 0x2d0
	v_lshlrev_b32_sdwa v25, v16, v24 dst_sel:DWORD dst_unused:UNUSED_PAD src0_sel:DWORD src1_sel:BYTE_0
	v_sub_nc_u16 v23, v57, v8
	v_lshlrev_b32_sdwa v24, v22, v24 dst_sel:DWORD dst_unused:UNUSED_PAD src0_sel:DWORD src1_sel:BYTE_0
	s_clause 0x1
	global_load_dwordx4 v[8:11], v25, s[8:9] offset:96
	global_load_dwordx4 v[12:15], v25, s[8:9] offset:112
	v_lshlrev_b32_sdwa v41, v16, v23 dst_sel:DWORD dst_unused:UNUSED_PAD src0_sel:DWORD src1_sel:BYTE_0
	v_mul_u32_u24_sdwa v20, v20, v55 dst_sel:DWORD dst_unused:UNUSED_PAD src0_sel:WORD_0 src1_sel:DWORD
	s_clause 0x5
	global_load_dwordx4 v[16:19], v25, s[8:9] offset:128
	global_load_dwordx4 v[25:28], v25, s[8:9] offset:144
	;; [unrolled: 1-line block ×6, first 2 shown]
	ds_read_b128 v[45:48], v64 offset:2016
	ds_read_b128 v[49:52], v64 offset:4032
	;; [unrolled: 1-line block ×8, first 2 shown]
	v_mul_u32_u24_sdwa v21, v21, v55 dst_sel:DWORD dst_unused:UNUSED_PAD src0_sel:WORD_0 src1_sel:DWORD
	v_lshlrev_b32_sdwa v22, v22, v23 dst_sel:DWORD dst_unused:UNUSED_PAD src0_sel:DWORD src1_sel:BYTE_0
	v_add3_u32 v20, 0, v20, v24
	v_add3_u32 v21, 0, v21, v22
                                        ; implicit-def: $vgpr22_vgpr23
	s_waitcnt vmcnt(5) lgkmcnt(5)
	v_mul_f64 v[92:93], v[68:69], v[18:19]
	v_mul_f64 v[53:54], v[47:48], v[10:11]
	;; [unrolled: 1-line block ×5, first 2 shown]
	s_waitcnt vmcnt(4) lgkmcnt(4)
	v_mul_f64 v[94:95], v[72:73], v[27:28]
	v_mul_f64 v[10:11], v[45:46], v[10:11]
	;; [unrolled: 1-line block ×3, first 2 shown]
	s_waitcnt vmcnt(3) lgkmcnt(3)
	v_mul_f64 v[96:97], v[76:77], v[31:32]
	v_mul_f64 v[31:32], v[74:75], v[31:32]
	s_waitcnt vmcnt(2) lgkmcnt(2)
	v_mul_f64 v[98:99], v[80:81], v[35:36]
	v_mul_f64 v[35:36], v[78:79], v[35:36]
	s_waitcnt vmcnt(1) lgkmcnt(1)
	v_mul_f64 v[100:101], v[84:85], v[39:40]
	s_waitcnt vmcnt(0) lgkmcnt(0)
	v_mul_f64 v[102:103], v[88:89], v[43:44]
	v_mul_f64 v[39:40], v[82:83], v[39:40]
	;; [unrolled: 1-line block ×3, first 2 shown]
	v_fma_f64 v[45:46], v[45:46], v[8:9], -v[53:54]
	v_fma_f64 v[49:50], v[49:50], v[12:13], -v[90:91]
	v_fma_f64 v[51:52], v[51:52], v[12:13], v[14:15]
	v_fma_f64 v[53:54], v[66:67], v[16:17], -v[92:93]
	v_fma_f64 v[16:17], v[68:69], v[16:17], v[18:19]
	;; [unrolled: 2-line block ×3, first 2 shown]
	v_fma_f64 v[27:28], v[72:73], v[25:26], v[27:28]
	v_fma_f64 v[25:26], v[74:75], v[29:30], -v[96:97]
	v_fma_f64 v[29:30], v[76:77], v[29:30], v[31:32]
	v_fma_f64 v[31:32], v[78:79], v[33:34], -v[98:99]
	;; [unrolled: 2-line block ×3, first 2 shown]
	v_fma_f64 v[66:67], v[86:87], v[41:42], -v[102:103]
	v_fma_f64 v[37:38], v[84:85], v[37:38], v[39:40]
	v_fma_f64 v[39:40], v[88:89], v[41:42], v[43:44]
	ds_read_b128 v[8:11], v64
	ds_read_b128 v[12:15], v64 offset:1008
	s_waitcnt lgkmcnt(0)
	s_barrier
	buffer_gl0_inv
	v_add_f64 v[80:81], v[45:46], -v[49:50]
	v_add_f64 v[86:87], v[49:50], -v[45:46]
	v_add_f64 v[41:42], v[49:50], v[53:54]
	v_add_f64 v[68:69], v[51:52], v[16:17]
	;; [unrolled: 1-line block ×3, first 2 shown]
	v_add_f64 v[82:83], v[18:19], -v[53:54]
	v_add_f64 v[70:71], v[47:48], v[27:28]
	v_add_f64 v[92:93], v[47:48], -v[51:52]
	v_add_f64 v[94:95], v[27:28], -v[16:17]
	;; [unrolled: 1-line block ×4, first 2 shown]
	v_add_f64 v[72:73], v[31:32], v[35:36]
	v_add_f64 v[74:75], v[25:26], v[66:67]
	;; [unrolled: 1-line block ×8, first 2 shown]
	v_add_f64 v[47:48], v[47:48], -v[27:28]
	v_add_f64 v[45:46], v[45:46], -v[18:19]
	;; [unrolled: 1-line block ×5, first 2 shown]
	v_fma_f64 v[41:42], v[41:42], -0.5, v[8:9]
	v_add_f64 v[108:109], v[31:32], -v[25:26]
	v_fma_f64 v[8:9], v[43:44], -0.5, v[8:9]
	v_fma_f64 v[43:44], v[68:69], -0.5, v[10:11]
	;; [unrolled: 1-line block ×3, first 2 shown]
	v_add_f64 v[68:69], v[49:50], -v[53:54]
	v_add_f64 v[112:113], v[29:30], -v[33:34]
	;; [unrolled: 1-line block ×5, first 2 shown]
	v_fma_f64 v[72:73], v[72:73], -0.5, v[12:13]
	v_fma_f64 v[12:13], v[74:75], -0.5, v[12:13]
	;; [unrolled: 1-line block ×3, first 2 shown]
	v_add_f64 v[106:107], v[66:67], -v[35:36]
	v_add_f64 v[70:71], v[33:34], -v[37:38]
	v_fma_f64 v[14:15], v[78:79], -0.5, v[14:15]
	v_add_f64 v[76:77], v[31:32], -v[35:36]
	v_add_f64 v[49:50], v[84:85], v[49:50]
	v_add_f64 v[51:52], v[90:91], v[51:52]
	;; [unrolled: 1-line block ×6, first 2 shown]
	v_fma_f64 v[84:85], v[47:48], s[0:1], v[41:42]
	v_fma_f64 v[41:42], v[47:48], s[4:5], v[41:42]
	v_fma_f64 v[90:91], v[120:121], s[4:5], v[8:9]
	v_fma_f64 v[8:9], v[120:121], s[0:1], v[8:9]
	v_fma_f64 v[94:95], v[45:46], s[4:5], v[43:44]
	v_add_f64 v[80:81], v[86:87], v[88:89]
	v_add_f64 v[86:87], v[96:97], v[98:99]
	v_fma_f64 v[43:44], v[45:46], s[0:1], v[43:44]
	v_fma_f64 v[96:97], v[68:69], s[0:1], v[10:11]
	;; [unrolled: 1-line block ×3, first 2 shown]
	v_add_f64 v[114:115], v[39:40], -v[37:38]
	v_fma_f64 v[98:99], v[29:30], s[0:1], v[72:73]
	v_fma_f64 v[72:73], v[29:30], s[4:5], v[72:73]
	;; [unrolled: 1-line block ×3, first 2 shown]
	v_add_f64 v[110:111], v[35:36], -v[66:67]
	v_add_f64 v[118:119], v[37:38], -v[39:40]
	v_add_f64 v[88:89], v[104:105], v[106:107]
	v_fma_f64 v[100:101], v[70:71], s[4:5], v[12:13]
	v_fma_f64 v[74:75], v[25:26], s[0:1], v[74:75]
	;; [unrolled: 1-line block ×5, first 2 shown]
	v_add_f64 v[49:50], v[49:50], v[53:54]
	v_add_f64 v[16:17], v[51:52], v[16:17]
	;; [unrolled: 1-line block ×4, first 2 shown]
	v_fma_f64 v[35:36], v[120:121], s[6:7], v[84:85]
	v_fma_f64 v[37:38], v[120:121], s[10:11], v[41:42]
	;; [unrolled: 1-line block ×8, first 2 shown]
	v_add_f64 v[106:107], v[112:113], v[114:115]
	v_fma_f64 v[53:54], v[70:71], s[6:7], v[98:99]
	v_fma_f64 v[68:69], v[70:71], s[10:11], v[72:73]
	v_fma_f64 v[72:73], v[76:77], s[10:11], v[102:103]
	v_add_f64 v[92:93], v[108:109], v[110:111]
	v_add_f64 v[108:109], v[116:117], v[118:119]
	v_fma_f64 v[70:71], v[29:30], s[6:7], v[100:101]
	v_fma_f64 v[74:75], v[76:77], s[6:7], v[74:75]
	;; [unrolled: 1-line block ×5, first 2 shown]
	s_mov_b32 s0, 0x372fe950
	s_mov_b32 s1, 0x3fd3c6ef
	v_add_f64 v[25:26], v[49:50], v[18:19]
	v_add_f64 v[27:28], v[16:17], v[27:28]
	;; [unrolled: 1-line block ×4, first 2 shown]
	v_fma_f64 v[33:34], v[78:79], s[0:1], v[35:36]
	v_fma_f64 v[35:36], v[82:83], s[0:1], v[47:48]
	;; [unrolled: 1-line block ×16, first 2 shown]
	ds_write_b128 v20, v[25:28]
	ds_write_b128 v20, v[33:36] offset:144
	ds_write_b128 v20, v[41:44] offset:288
	;; [unrolled: 1-line block ×4, first 2 shown]
	ds_write_b128 v21, v[29:32]
	ds_write_b128 v21, v[49:52] offset:144
	ds_write_b128 v21, v[8:11] offset:288
	;; [unrolled: 1-line block ×4, first 2 shown]
	s_waitcnt lgkmcnt(0)
	s_barrier
	buffer_gl0_inv
	ds_read_b128 v[28:31], v64
	ds_read_b128 v[48:51], v64 offset:1440
	ds_read_b128 v[44:47], v64 offset:2880
	;; [unrolled: 1-line block ×6, first 2 shown]
	v_cmp_gt_u32_e64 s0, 27, v56
                                        ; implicit-def: $vgpr26_vgpr27
	s_and_saveexec_b32 s1, s0
	s_cbranch_execz .LBB0_25
; %bb.24:
	ds_read_b128 v[8:11], v64 offset:1008
	ds_read_b128 v[12:15], v64 offset:2448
	;; [unrolled: 1-line block ×7, first 2 shown]
.LBB0_25:
	s_or_b32 exec_lo, exec_lo, s1
	v_subrev_nc_u32_e32 v66, 45, v56
	v_cmp_gt_u32_e64 s1, 45, v56
	v_mov_b32_e32 v67, 0
	s_mov_b32 s10, 0x37e14327
	s_mov_b32 s14, 0xe976ee23
	;; [unrolled: 1-line block ×3, first 2 shown]
	v_cndmask_b32_e64 v102, v66, v56, s1
	s_mov_b32 s15, 0xbfe11646
	s_mov_b32 s6, 0x429ad128
	;; [unrolled: 1-line block ×4, first 2 shown]
	v_mul_i32_i24_e32 v66, 6, v102
	s_mov_b32 s5, 0x3fac98ee
	s_mov_b32 s12, 0xaaaaaaaa
	;; [unrolled: 1-line block ×4, first 2 shown]
	v_lshlrev_b64 v[66:67], 4, v[66:67]
	s_mov_b32 s16, 0x5476071b
	s_mov_b32 s21, 0x3fd5d0dc
	s_mov_b32 s17, 0x3fe77f67
	s_mov_b32 s19, 0xbfe77f67
	s_mov_b32 s23, 0xbfd5d0dc
	v_add_co_u32 v86, s1, s8, v66
	v_add_co_ci_u32_e64 v87, s1, s9, v67, s1
	s_mov_b32 s18, s16
	s_mov_b32 s22, s20
	s_clause 0x5
	global_load_dwordx4 v[66:69], v[86:87], off offset:672
	global_load_dwordx4 v[70:73], v[86:87], off offset:688
	;; [unrolled: 1-line block ×6, first 2 shown]
	s_mov_b32 s24, 0x37c3f68c
	s_mov_b32 s25, 0x3fdc38aa
	v_cmp_lt_u32_e64 s1, 44, v56
	s_waitcnt vmcnt(0) lgkmcnt(0)
	s_barrier
	buffer_gl0_inv
	v_mul_f64 v[90:91], v[50:51], v[68:69]
	v_mul_f64 v[68:69], v[48:49], v[68:69]
	;; [unrolled: 1-line block ×12, first 2 shown]
	v_fma_f64 v[48:49], v[48:49], v[66:67], -v[90:91]
	v_fma_f64 v[50:51], v[50:51], v[66:67], v[68:69]
	v_fma_f64 v[44:45], v[44:45], v[70:71], -v[92:93]
	v_fma_f64 v[46:47], v[46:47], v[70:71], v[72:73]
	;; [unrolled: 2-line block ×6, first 2 shown]
	v_add_f64 v[66:67], v[48:49], v[52:53]
	v_add_f64 v[68:69], v[50:51], v[54:55]
	;; [unrolled: 1-line block ×4, first 2 shown]
	v_add_f64 v[40:41], v[44:45], -v[40:41]
	v_add_f64 v[42:43], v[46:47], -v[42:43]
	v_add_f64 v[44:45], v[36:37], v[32:33]
	v_add_f64 v[46:47], v[38:39], v[34:35]
	v_add_f64 v[32:33], v[32:33], -v[36:37]
	v_add_f64 v[34:35], v[34:35], -v[38:39]
	;; [unrolled: 1-line block ×4, first 2 shown]
	v_add_f64 v[48:49], v[70:71], v[66:67]
	v_add_f64 v[50:51], v[72:73], v[68:69]
	v_add_f64 v[52:53], v[66:67], -v[44:45]
	v_add_f64 v[54:55], v[68:69], -v[46:47]
	;; [unrolled: 1-line block ×6, first 2 shown]
	v_add_f64 v[40:41], v[32:33], v[40:41]
	v_add_f64 v[42:43], v[34:35], v[42:43]
	v_add_f64 v[32:33], v[36:37], -v[32:33]
	v_add_f64 v[34:35], v[38:39], -v[34:35]
	;; [unrolled: 1-line block ×4, first 2 shown]
	v_add_f64 v[48:49], v[44:45], v[48:49]
	v_add_f64 v[50:51], v[46:47], v[50:51]
	v_add_f64 v[44:45], v[44:45], -v[70:71]
	v_add_f64 v[46:47], v[46:47], -v[72:73]
	v_mul_f64 v[52:53], v[52:53], s[10:11]
	v_mul_f64 v[54:55], v[54:55], s[10:11]
	;; [unrolled: 1-line block ×6, first 2 shown]
	v_add_f64 v[36:37], v[40:41], v[36:37]
	v_add_f64 v[38:39], v[42:43], v[38:39]
	;; [unrolled: 1-line block ×4, first 2 shown]
	v_mul_f64 v[70:71], v[44:45], s[4:5]
	v_mul_f64 v[72:73], v[46:47], s[4:5]
	v_fma_f64 v[40:41], v[44:45], s[4:5], v[52:53]
	v_fma_f64 v[42:43], v[46:47], s[4:5], v[54:55]
	;; [unrolled: 1-line block ×4, first 2 shown]
	v_fma_f64 v[74:75], v[78:79], s[6:7], -v[74:75]
	v_fma_f64 v[76:77], v[80:81], s[6:7], -v[76:77]
	;; [unrolled: 1-line block ×6, first 2 shown]
	v_fma_f64 v[48:49], v[48:49], s[12:13], v[28:29]
	v_fma_f64 v[50:51], v[50:51], s[12:13], v[30:31]
	v_fma_f64 v[66:67], v[66:67], s[16:17], -v[70:71]
	v_fma_f64 v[68:69], v[68:69], s[16:17], -v[72:73]
	v_fma_f64 v[70:71], v[36:37], s[24:25], v[44:45]
	v_fma_f64 v[72:73], v[38:39], s[24:25], v[46:47]
	;; [unrolled: 1-line block ×6, first 2 shown]
	v_add_f64 v[78:79], v[40:41], v[48:49]
	v_add_f64 v[80:81], v[42:43], v[50:51]
	;; [unrolled: 1-line block ×6, first 2 shown]
	v_cndmask_b32_e64 v66, 0, 0x13b0, s1
	v_lshlrev_b32_e32 v67, 4, v102
	v_add3_u32 v66, 0, v66, v67
	v_add_f64 v[32:33], v[72:73], v[78:79]
	v_add_f64 v[34:35], v[80:81], -v[70:71]
	v_add_f64 v[36:37], v[76:77], v[52:53]
	v_add_f64 v[38:39], v[54:55], -v[74:75]
	v_add_f64 v[40:41], v[48:49], -v[44:45]
	v_add_f64 v[42:43], v[46:47], v[50:51]
	v_add_f64 v[44:45], v[44:45], v[48:49]
	v_add_f64 v[46:47], v[50:51], -v[46:47]
	v_add_f64 v[48:49], v[52:53], -v[76:77]
	v_add_f64 v[50:51], v[74:75], v[54:55]
	v_add_f64 v[52:53], v[78:79], -v[72:73]
	v_add_f64 v[54:55], v[70:71], v[80:81]
	ds_write_b128 v66, v[28:31]
	ds_write_b128 v66, v[32:35] offset:720
	ds_write_b128 v66, v[36:39] offset:1440
	;; [unrolled: 1-line block ×6, first 2 shown]
	s_and_saveexec_b32 s1, s0
	s_cbranch_execz .LBB0_27
; %bb.26:
	v_mul_lo_u16 v28, 0x6d, v65
	v_lshrrev_b16 v28, 8, v28
	v_sub_nc_u16 v29, v57, v28
	v_lshrrev_b16 v29, 1, v29
	v_and_b32_e32 v29, 0x7f, v29
	v_add_nc_u16 v28, v29, v28
	v_lshrrev_b16 v28, 5, v28
	v_mul_lo_u16 v28, v28, 45
	v_sub_nc_u16 v28, v57, v28
	v_and_b32_e32 v57, 0xff, v28
	v_mul_u32_u24_e32 v28, 6, v57
	v_lshlrev_b32_e32 v48, 4, v28
	s_clause 0x5
	global_load_dwordx4 v[28:31], v48, s[8:9] offset:688
	global_load_dwordx4 v[32:35], v48, s[8:9] offset:736
	;; [unrolled: 1-line block ×6, first 2 shown]
	s_waitcnt vmcnt(5)
	v_mul_f64 v[52:53], v[16:17], v[30:31]
	s_waitcnt vmcnt(4)
	v_mul_f64 v[54:55], v[20:21], v[34:35]
	;; [unrolled: 2-line block ×4, first 2 shown]
	v_mul_f64 v[30:31], v[18:19], v[30:31]
	v_mul_f64 v[34:35], v[22:23], v[34:35]
	;; [unrolled: 1-line block ×4, first 2 shown]
	s_waitcnt vmcnt(1)
	v_mul_f64 v[69:70], v[6:7], v[46:47]
	s_waitcnt vmcnt(0)
	v_mul_f64 v[71:72], v[2:3], v[50:51]
	v_mul_f64 v[50:51], v[0:1], v[50:51]
	;; [unrolled: 1-line block ×3, first 2 shown]
	v_fma_f64 v[18:19], v[18:19], v[28:29], v[52:53]
	v_fma_f64 v[22:23], v[22:23], v[32:33], v[54:55]
	;; [unrolled: 1-line block ×4, first 2 shown]
	v_fma_f64 v[16:17], v[16:17], v[28:29], -v[30:31]
	v_fma_f64 v[20:21], v[20:21], v[32:33], -v[34:35]
	;; [unrolled: 1-line block ×6, first 2 shown]
	v_fma_f64 v[2:3], v[2:3], v[48:49], v[50:51]
	v_fma_f64 v[6:7], v[6:7], v[44:45], v[46:47]
	v_add_f64 v[28:29], v[18:19], v[22:23]
	v_add_f64 v[30:31], v[14:15], v[26:27]
	v_add_f64 v[14:15], v[14:15], -v[26:27]
	v_add_f64 v[32:33], v[16:17], v[20:21]
	v_add_f64 v[16:17], v[16:17], -v[20:21]
	;; [unrolled: 2-line block ×3, first 2 shown]
	v_add_f64 v[0:1], v[0:1], v[4:5]
	v_add_f64 v[20:21], v[2:3], v[6:7]
	v_add_f64 v[4:5], v[12:13], -v[24:25]
	v_add_f64 v[2:3], v[6:7], -v[2:3]
	;; [unrolled: 1-line block ×3, first 2 shown]
	v_add_f64 v[12:13], v[28:29], v[30:31]
	v_add_f64 v[18:19], v[32:33], v[34:35]
	v_add_f64 v[22:23], v[36:37], -v[16:17]
	v_add_f64 v[26:27], v[34:35], -v[0:1]
	v_add_f64 v[24:25], v[30:31], -v[20:21]
	v_add_f64 v[38:39], v[16:17], -v[4:5]
	v_add_f64 v[44:45], v[0:1], -v[32:33]
	v_add_f64 v[40:41], v[2:3], -v[6:7]
	v_add_f64 v[42:43], v[6:7], -v[14:15]
	v_add_f64 v[16:17], v[36:37], v[16:17]
	v_add_f64 v[36:37], v[4:5], -v[36:37]
	v_add_f64 v[6:7], v[2:3], v[6:7]
	v_add_f64 v[48:49], v[14:15], -v[2:3]
	;; [unrolled: 2-line block ×3, first 2 shown]
	v_add_f64 v[18:19], v[0:1], v[18:19]
	v_mul_f64 v[22:23], v[22:23], s[14:15]
	v_mul_f64 v[26:27], v[26:27], s[10:11]
	;; [unrolled: 1-line block ×4, first 2 shown]
	v_add_f64 v[4:5], v[16:17], v[4:5]
	v_add_f64 v[6:7], v[6:7], v[14:15]
	;; [unrolled: 1-line block ×3, first 2 shown]
	v_add_f64 v[10:11], v[28:29], -v[30:31]
	v_mul_f64 v[28:29], v[20:21], s[4:5]
	v_mul_f64 v[30:31], v[40:41], s[14:15]
	v_add_f64 v[0:1], v[8:9], v[18:19]
	v_mul_f64 v[40:41], v[42:43], s[6:7]
	v_add_f64 v[8:9], v[32:33], -v[34:35]
	v_mul_f64 v[32:33], v[44:45], s[4:5]
	v_fma_f64 v[14:15], v[36:37], s[20:21], v[22:23]
	v_fma_f64 v[16:17], v[20:21], s[4:5], v[24:25]
	v_fma_f64 v[20:21], v[44:45], s[4:5], v[26:27]
	v_fma_f64 v[34:35], v[36:37], s[22:23], -v[46:47]
	v_fma_f64 v[22:23], v[38:39], s[6:7], -v[22:23]
	v_fma_f64 v[12:13], v[12:13], s[12:13], v[2:3]
	v_fma_f64 v[24:25], v[10:11], s[18:19], -v[24:25]
	v_fma_f64 v[10:11], v[10:11], s[16:17], -v[28:29]
	v_fma_f64 v[28:29], v[48:49], s[20:21], v[30:31]
	v_fma_f64 v[18:19], v[18:19], s[12:13], v[0:1]
	v_fma_f64 v[36:37], v[48:49], s[22:23], -v[40:41]
	v_fma_f64 v[26:27], v[8:9], s[18:19], -v[26:27]
	v_fma_f64 v[30:31], v[42:43], s[6:7], -v[30:31]
	v_fma_f64 v[8:9], v[8:9], s[16:17], -v[32:33]
	v_fma_f64 v[32:33], v[4:5], s[24:25], v[14:15]
	v_fma_f64 v[34:35], v[4:5], s[24:25], v[34:35]
	;; [unrolled: 1-line block ×3, first 2 shown]
	v_add_f64 v[16:17], v[16:17], v[12:13]
	v_add_f64 v[22:23], v[24:25], v[12:13]
	;; [unrolled: 1-line block ×3, first 2 shown]
	v_fma_f64 v[28:29], v[6:7], s[24:25], v[28:29]
	v_add_f64 v[38:39], v[20:21], v[18:19]
	v_fma_f64 v[36:37], v[6:7], s[24:25], v[36:37]
	v_add_f64 v[40:41], v[26:27], v[18:19]
	;; [unrolled: 2-line block ×3, first 2 shown]
	v_add_f64 v[26:27], v[16:17], -v[32:33]
	v_add_f64 v[10:11], v[34:35], v[22:23]
	v_add_f64 v[22:23], v[22:23], -v[34:35]
	v_add_f64 v[6:7], v[32:33], v[16:17]
	v_add_f64 v[24:25], v[28:29], v[38:39]
	;; [unrolled: 1-line block ×4, first 2 shown]
	v_add_f64 v[14:15], v[12:13], -v[4:5]
	v_add_f64 v[16:17], v[8:9], -v[30:31]
	v_add_f64 v[12:13], v[30:31], v[8:9]
	v_add_f64 v[8:9], v[40:41], -v[36:37]
	v_add_f64 v[4:5], v[38:39], -v[28:29]
	v_lshl_add_u32 v28, v57, 4, 0
	ds_write_b128 v28, v[0:3] offset:5040
	ds_write_b128 v28, v[24:27] offset:5760
	;; [unrolled: 1-line block ×7, first 2 shown]
.LBB0_27:
	s_or_b32 exec_lo, exec_lo, s1
	v_add_co_u32 v0, s0, s8, v60
	v_add_co_ci_u32_e64 v1, s0, s9, v61, s0
	v_add_co_u32 v8, s0, s8, v62
	v_add_co_ci_u32_e64 v9, s0, s9, v63, s0
	;; [unrolled: 2-line block ×5, first 2 shown]
	v_add_co_u32 v16, s0, 0x2000, v8
	s_waitcnt lgkmcnt(0)
	s_barrier
	buffer_gl0_inv
	s_clause 0x1
	global_load_dwordx4 v[0:3], v[0:1], off offset:896
	global_load_dwordx4 v[4:7], v[4:5], off offset:1904
	v_add_co_ci_u32_e64 v17, s0, 0, v9, s0
	s_clause 0x2
	global_load_dwordx4 v[8:11], v[12:13], off offset:864
	global_load_dwordx4 v[12:15], v[12:13], off offset:1872
	;; [unrolled: 1-line block ×3, first 2 shown]
	ds_read_b128 v[20:23], v64 offset:5040
	ds_read_b128 v[24:27], v64 offset:6048
	;; [unrolled: 1-line block ×6, first 2 shown]
	ds_read_b128 v[44:47], v64
	ds_read_b128 v[48:51], v64 offset:1008
	ds_read_b128 v[52:55], v64 offset:2016
	;; [unrolled: 1-line block ×3, first 2 shown]
	s_waitcnt vmcnt(0) lgkmcnt(0)
	s_barrier
	buffer_gl0_inv
	v_mul_f64 v[65:66], v[22:23], v[2:3]
	v_mul_f64 v[2:3], v[20:21], v[2:3]
	;; [unrolled: 1-line block ×10, first 2 shown]
	v_fma_f64 v[20:21], v[20:21], v[0:1], -v[65:66]
	v_fma_f64 v[2:3], v[22:23], v[0:1], v[2:3]
	v_fma_f64 v[22:23], v[24:25], v[4:5], -v[67:68]
	v_fma_f64 v[6:7], v[26:27], v[4:5], v[6:7]
	v_fma_f64 v[24:25], v[28:29], v[8:9], -v[69:70]
	v_fma_f64 v[10:11], v[30:31], v[8:9], v[10:11]
	v_fma_f64 v[26:27], v[32:33], v[12:13], -v[71:72]
	v_fma_f64 v[14:15], v[34:35], v[12:13], v[14:15]
	v_fma_f64 v[28:29], v[36:37], v[16:17], -v[73:74]
	v_fma_f64 v[18:19], v[38:39], v[16:17], v[18:19]
	v_add_f64 v[0:1], v[44:45], -v[20:21]
	v_add_f64 v[2:3], v[46:47], -v[2:3]
	;; [unrolled: 1-line block ×10, first 2 shown]
	v_fma_f64 v[20:21], v[44:45], 2.0, -v[0:1]
	v_fma_f64 v[22:23], v[46:47], 2.0, -v[2:3]
	;; [unrolled: 1-line block ×10, first 2 shown]
	ds_write_b128 v64, v[0:3] offset:5040
	ds_write_b128 v64, v[4:7] offset:6048
	;; [unrolled: 1-line block ×5, first 2 shown]
	ds_write_b128 v64, v[20:23]
	ds_write_b128 v64, v[24:27] offset:1008
	ds_write_b128 v64, v[28:31] offset:2016
	;; [unrolled: 1-line block ×4, first 2 shown]
	s_waitcnt lgkmcnt(0)
	s_barrier
	buffer_gl0_inv
	s_and_saveexec_b32 s0, vcc_lo
	s_cbranch_execz .LBB0_29
; %bb.28:
	v_mov_b32_e32 v57, 0
	v_lshl_add_u32 v30, v56, 4, 0
	v_add_nc_u32_e32 v8, 63, v56
	v_add_co_u32 v31, vcc_lo, s2, v58
	v_mov_b32_e32 v9, v57
	v_lshlrev_b64 v[12:13], 4, v[56:57]
	ds_read_b128 v[0:3], v30
	ds_read_b128 v[4:7], v30 offset:1008
	v_add_co_ci_u32_e32 v32, vcc_lo, s3, v59, vcc_lo
	v_lshlrev_b64 v[14:15], 4, v[8:9]
	ds_read_b128 v[8:11], v30 offset:2016
	v_add_nc_u32_e32 v16, 0x7e, v56
	v_mov_b32_e32 v17, v57
	v_add_co_u32 v20, vcc_lo, v31, v12
	v_add_co_ci_u32_e32 v21, vcc_lo, v32, v13, vcc_lo
	v_lshlrev_b64 v[12:13], 4, v[16:17]
	v_add_nc_u32_e32 v16, 0xbd, v56
	v_add_co_u32 v22, vcc_lo, v31, v14
	v_add_co_ci_u32_e32 v23, vcc_lo, v32, v15, vcc_lo
	v_lshlrev_b64 v[26:27], 4, v[16:17]
	ds_read_b128 v[16:19], v30 offset:4032
	v_add_co_u32 v24, vcc_lo, v31, v12
	v_add_nc_u32_e32 v28, 0xfc, v56
	v_mov_b32_e32 v29, v57
	v_add_co_ci_u32_e32 v25, vcc_lo, v32, v13, vcc_lo
	ds_read_b128 v[12:15], v30 offset:3024
	s_waitcnt lgkmcnt(4)
	global_store_dwordx4 v[20:21], v[0:3], off
	s_waitcnt lgkmcnt(3)
	global_store_dwordx4 v[22:23], v[4:7], off
	;; [unrolled: 2-line block ×3, first 2 shown]
	v_lshlrev_b64 v[0:1], 4, v[28:29]
	v_add_co_u32 v2, vcc_lo, v31, v26
	v_add_co_ci_u32_e32 v3, vcc_lo, v32, v27, vcc_lo
	v_add_nc_u32_e32 v4, 0x13b, v56
	v_mov_b32_e32 v5, v57
	v_add_co_u32 v6, vcc_lo, v31, v0
	v_add_co_ci_u32_e32 v7, vcc_lo, v32, v1, vcc_lo
	v_add_nc_u32_e32 v8, 0x17a, v56
	v_mov_b32_e32 v9, v57
	v_lshlrev_b64 v[4:5], 4, v[4:5]
	s_waitcnt lgkmcnt(1)
	global_store_dwordx4 v[6:7], v[16:19], off
	v_add_nc_u32_e32 v24, 0x1f8, v56
	v_mov_b32_e32 v25, v57
	v_lshlrev_b64 v[6:7], 4, v[8:9]
	s_waitcnt lgkmcnt(0)
	global_store_dwordx4 v[2:3], v[12:15], off
	v_add_co_u32 v20, vcc_lo, v31, v4
	v_add_nc_u32_e32 v12, 0x1b9, v56
	v_mov_b32_e32 v13, v57
	v_add_co_ci_u32_e32 v21, vcc_lo, v32, v5, vcc_lo
	v_add_co_u32 v22, vcc_lo, v31, v6
	ds_read_b128 v[0:3], v30 offset:5040
	v_add_co_ci_u32_e32 v23, vcc_lo, v32, v7, vcc_lo
	ds_read_b128 v[4:7], v30 offset:6048
	ds_read_b128 v[8:11], v30 offset:7056
	v_lshlrev_b64 v[26:27], 4, v[12:13]
	ds_read_b128 v[12:15], v30 offset:8064
	ds_read_b128 v[16:19], v30 offset:9072
	v_add_nc_u32_e32 v56, 0x237, v56
	v_lshlrev_b64 v[24:25], 4, v[24:25]
	v_add_co_u32 v26, vcc_lo, v31, v26
	v_lshlrev_b64 v[28:29], 4, v[56:57]
	v_add_co_ci_u32_e32 v27, vcc_lo, v32, v27, vcc_lo
	v_add_co_u32 v24, vcc_lo, v31, v24
	v_add_co_ci_u32_e32 v25, vcc_lo, v32, v25, vcc_lo
	v_add_co_u32 v28, vcc_lo, v31, v28
	v_add_co_ci_u32_e32 v29, vcc_lo, v32, v29, vcc_lo
	s_waitcnt lgkmcnt(4)
	global_store_dwordx4 v[20:21], v[0:3], off
	s_waitcnt lgkmcnt(3)
	global_store_dwordx4 v[22:23], v[4:7], off
	;; [unrolled: 2-line block ×5, first 2 shown]
.LBB0_29:
	s_endpgm
	.section	.rodata,"a",@progbits
	.p2align	6, 0x0
	.amdhsa_kernel fft_rtc_fwd_len630_factors_3_3_5_7_2_wgs_63_tpt_63_halfLds_dp_ip_CI_unitstride_sbrr_C2R_dirReg
		.amdhsa_group_segment_fixed_size 0
		.amdhsa_private_segment_fixed_size 0
		.amdhsa_kernarg_size 88
		.amdhsa_user_sgpr_count 6
		.amdhsa_user_sgpr_private_segment_buffer 1
		.amdhsa_user_sgpr_dispatch_ptr 0
		.amdhsa_user_sgpr_queue_ptr 0
		.amdhsa_user_sgpr_kernarg_segment_ptr 1
		.amdhsa_user_sgpr_dispatch_id 0
		.amdhsa_user_sgpr_flat_scratch_init 0
		.amdhsa_user_sgpr_private_segment_size 0
		.amdhsa_wavefront_size32 1
		.amdhsa_uses_dynamic_stack 0
		.amdhsa_system_sgpr_private_segment_wavefront_offset 0
		.amdhsa_system_sgpr_workgroup_id_x 1
		.amdhsa_system_sgpr_workgroup_id_y 0
		.amdhsa_system_sgpr_workgroup_id_z 0
		.amdhsa_system_sgpr_workgroup_info 0
		.amdhsa_system_vgpr_workitem_id 0
		.amdhsa_next_free_vgpr 122
		.amdhsa_next_free_sgpr 26
		.amdhsa_reserve_vcc 1
		.amdhsa_reserve_flat_scratch 0
		.amdhsa_float_round_mode_32 0
		.amdhsa_float_round_mode_16_64 0
		.amdhsa_float_denorm_mode_32 3
		.amdhsa_float_denorm_mode_16_64 3
		.amdhsa_dx10_clamp 1
		.amdhsa_ieee_mode 1
		.amdhsa_fp16_overflow 0
		.amdhsa_workgroup_processor_mode 1
		.amdhsa_memory_ordered 1
		.amdhsa_forward_progress 0
		.amdhsa_shared_vgpr_count 0
		.amdhsa_exception_fp_ieee_invalid_op 0
		.amdhsa_exception_fp_denorm_src 0
		.amdhsa_exception_fp_ieee_div_zero 0
		.amdhsa_exception_fp_ieee_overflow 0
		.amdhsa_exception_fp_ieee_underflow 0
		.amdhsa_exception_fp_ieee_inexact 0
		.amdhsa_exception_int_div_zero 0
	.end_amdhsa_kernel
	.text
.Lfunc_end0:
	.size	fft_rtc_fwd_len630_factors_3_3_5_7_2_wgs_63_tpt_63_halfLds_dp_ip_CI_unitstride_sbrr_C2R_dirReg, .Lfunc_end0-fft_rtc_fwd_len630_factors_3_3_5_7_2_wgs_63_tpt_63_halfLds_dp_ip_CI_unitstride_sbrr_C2R_dirReg
                                        ; -- End function
	.section	.AMDGPU.csdata,"",@progbits
; Kernel info:
; codeLenInByte = 9956
; NumSgprs: 28
; NumVgprs: 122
; ScratchSize: 0
; MemoryBound: 0
; FloatMode: 240
; IeeeMode: 1
; LDSByteSize: 0 bytes/workgroup (compile time only)
; SGPRBlocks: 3
; VGPRBlocks: 15
; NumSGPRsForWavesPerEU: 28
; NumVGPRsForWavesPerEU: 122
; Occupancy: 8
; WaveLimiterHint : 1
; COMPUTE_PGM_RSRC2:SCRATCH_EN: 0
; COMPUTE_PGM_RSRC2:USER_SGPR: 6
; COMPUTE_PGM_RSRC2:TRAP_HANDLER: 0
; COMPUTE_PGM_RSRC2:TGID_X_EN: 1
; COMPUTE_PGM_RSRC2:TGID_Y_EN: 0
; COMPUTE_PGM_RSRC2:TGID_Z_EN: 0
; COMPUTE_PGM_RSRC2:TIDIG_COMP_CNT: 0
	.text
	.p2alignl 6, 3214868480
	.fill 48, 4, 3214868480
	.type	__hip_cuid_397cc9c04a781de8,@object ; @__hip_cuid_397cc9c04a781de8
	.section	.bss,"aw",@nobits
	.globl	__hip_cuid_397cc9c04a781de8
__hip_cuid_397cc9c04a781de8:
	.byte	0                               ; 0x0
	.size	__hip_cuid_397cc9c04a781de8, 1

	.ident	"AMD clang version 19.0.0git (https://github.com/RadeonOpenCompute/llvm-project roc-6.4.0 25133 c7fe45cf4b819c5991fe208aaa96edf142730f1d)"
	.section	".note.GNU-stack","",@progbits
	.addrsig
	.addrsig_sym __hip_cuid_397cc9c04a781de8
	.amdgpu_metadata
---
amdhsa.kernels:
  - .args:
      - .actual_access:  read_only
        .address_space:  global
        .offset:         0
        .size:           8
        .value_kind:     global_buffer
      - .offset:         8
        .size:           8
        .value_kind:     by_value
      - .actual_access:  read_only
        .address_space:  global
        .offset:         16
        .size:           8
        .value_kind:     global_buffer
      - .actual_access:  read_only
        .address_space:  global
        .offset:         24
        .size:           8
        .value_kind:     global_buffer
      - .offset:         32
        .size:           8
        .value_kind:     by_value
      - .actual_access:  read_only
        .address_space:  global
        .offset:         40
        .size:           8
        .value_kind:     global_buffer
      - .actual_access:  read_only
        .address_space:  global
        .offset:         48
        .size:           8
        .value_kind:     global_buffer
      - .offset:         56
        .size:           4
        .value_kind:     by_value
      - .actual_access:  read_only
        .address_space:  global
        .offset:         64
        .size:           8
        .value_kind:     global_buffer
      - .actual_access:  read_only
        .address_space:  global
        .offset:         72
        .size:           8
        .value_kind:     global_buffer
      - .address_space:  global
        .offset:         80
        .size:           8
        .value_kind:     global_buffer
    .group_segment_fixed_size: 0
    .kernarg_segment_align: 8
    .kernarg_segment_size: 88
    .language:       OpenCL C
    .language_version:
      - 2
      - 0
    .max_flat_workgroup_size: 63
    .name:           fft_rtc_fwd_len630_factors_3_3_5_7_2_wgs_63_tpt_63_halfLds_dp_ip_CI_unitstride_sbrr_C2R_dirReg
    .private_segment_fixed_size: 0
    .sgpr_count:     28
    .sgpr_spill_count: 0
    .symbol:         fft_rtc_fwd_len630_factors_3_3_5_7_2_wgs_63_tpt_63_halfLds_dp_ip_CI_unitstride_sbrr_C2R_dirReg.kd
    .uniform_work_group_size: 1
    .uses_dynamic_stack: false
    .vgpr_count:     122
    .vgpr_spill_count: 0
    .wavefront_size: 32
    .workgroup_processor_mode: 1
amdhsa.target:   amdgcn-amd-amdhsa--gfx1030
amdhsa.version:
  - 1
  - 2
...

	.end_amdgpu_metadata
